;; amdgpu-corpus repo=ROCm/rocFFT kind=compiled arch=gfx906 opt=O3
	.text
	.amdgcn_target "amdgcn-amd-amdhsa--gfx906"
	.amdhsa_code_object_version 6
	.protected	fft_rtc_back_len2592_factors_6_6_6_6_2_wgs_216_tpt_216_halfLds_half_ip_CI_sbrr_dirReg ; -- Begin function fft_rtc_back_len2592_factors_6_6_6_6_2_wgs_216_tpt_216_halfLds_half_ip_CI_sbrr_dirReg
	.globl	fft_rtc_back_len2592_factors_6_6_6_6_2_wgs_216_tpt_216_halfLds_half_ip_CI_sbrr_dirReg
	.p2align	8
	.type	fft_rtc_back_len2592_factors_6_6_6_6_2_wgs_216_tpt_216_halfLds_half_ip_CI_sbrr_dirReg,@function
fft_rtc_back_len2592_factors_6_6_6_6_2_wgs_216_tpt_216_halfLds_half_ip_CI_sbrr_dirReg: ; @fft_rtc_back_len2592_factors_6_6_6_6_2_wgs_216_tpt_216_halfLds_half_ip_CI_sbrr_dirReg
; %bb.0:
	s_load_dwordx2 s[14:15], s[4:5], 0x18
	s_load_dwordx4 s[8:11], s[4:5], 0x0
	s_load_dwordx2 s[12:13], s[4:5], 0x50
	v_mul_u32_u24_e32 v1, 0x130, v0
	v_add_u32_sdwa v5, s6, v1 dst_sel:DWORD dst_unused:UNUSED_PAD src0_sel:DWORD src1_sel:WORD_1
	s_waitcnt lgkmcnt(0)
	s_load_dwordx2 s[2:3], s[14:15], 0x0
	v_cmp_lt_u64_e64 s[0:1], s[10:11], 2
	v_mov_b32_e32 v3, 0
	v_mov_b32_e32 v1, 0
	;; [unrolled: 1-line block ×3, first 2 shown]
	s_and_b64 vcc, exec, s[0:1]
	v_mov_b32_e32 v2, 0
	s_cbranch_vccnz .LBB0_8
; %bb.1:
	s_load_dwordx2 s[0:1], s[4:5], 0x10
	s_add_u32 s6, s14, 8
	s_addc_u32 s7, s15, 0
	v_mov_b32_e32 v1, 0
	v_mov_b32_e32 v2, 0
	s_waitcnt lgkmcnt(0)
	s_add_u32 s16, s0, 8
	s_addc_u32 s17, s1, 0
	s_mov_b64 s[18:19], 1
.LBB0_2:                                ; =>This Inner Loop Header: Depth=1
	s_load_dwordx2 s[20:21], s[16:17], 0x0
                                        ; implicit-def: $vgpr7_vgpr8
	s_waitcnt lgkmcnt(0)
	v_or_b32_e32 v4, s21, v6
	v_cmp_ne_u64_e32 vcc, 0, v[3:4]
	s_and_saveexec_b64 s[0:1], vcc
	s_xor_b64 s[22:23], exec, s[0:1]
	s_cbranch_execz .LBB0_4
; %bb.3:                                ;   in Loop: Header=BB0_2 Depth=1
	v_cvt_f32_u32_e32 v4, s20
	v_cvt_f32_u32_e32 v7, s21
	s_sub_u32 s0, 0, s20
	s_subb_u32 s1, 0, s21
	v_mac_f32_e32 v4, 0x4f800000, v7
	v_rcp_f32_e32 v4, v4
	v_mul_f32_e32 v4, 0x5f7ffffc, v4
	v_mul_f32_e32 v7, 0x2f800000, v4
	v_trunc_f32_e32 v7, v7
	v_mac_f32_e32 v4, 0xcf800000, v7
	v_cvt_u32_f32_e32 v7, v7
	v_cvt_u32_f32_e32 v4, v4
	v_mul_lo_u32 v8, s0, v7
	v_mul_hi_u32 v9, s0, v4
	v_mul_lo_u32 v11, s1, v4
	v_mul_lo_u32 v10, s0, v4
	v_add_u32_e32 v8, v9, v8
	v_add_u32_e32 v8, v8, v11
	v_mul_hi_u32 v9, v4, v10
	v_mul_lo_u32 v11, v4, v8
	v_mul_hi_u32 v13, v4, v8
	v_mul_hi_u32 v12, v7, v10
	v_mul_lo_u32 v10, v7, v10
	v_mul_hi_u32 v14, v7, v8
	v_add_co_u32_e32 v9, vcc, v9, v11
	v_addc_co_u32_e32 v11, vcc, 0, v13, vcc
	v_mul_lo_u32 v8, v7, v8
	v_add_co_u32_e32 v9, vcc, v9, v10
	v_addc_co_u32_e32 v9, vcc, v11, v12, vcc
	v_addc_co_u32_e32 v10, vcc, 0, v14, vcc
	v_add_co_u32_e32 v8, vcc, v9, v8
	v_addc_co_u32_e32 v9, vcc, 0, v10, vcc
	v_add_co_u32_e32 v4, vcc, v4, v8
	v_addc_co_u32_e32 v7, vcc, v7, v9, vcc
	v_mul_lo_u32 v8, s0, v7
	v_mul_hi_u32 v9, s0, v4
	v_mul_lo_u32 v10, s1, v4
	v_mul_lo_u32 v11, s0, v4
	v_add_u32_e32 v8, v9, v8
	v_add_u32_e32 v8, v8, v10
	v_mul_lo_u32 v12, v4, v8
	v_mul_hi_u32 v13, v4, v11
	v_mul_hi_u32 v14, v4, v8
	;; [unrolled: 1-line block ×3, first 2 shown]
	v_mul_lo_u32 v11, v7, v11
	v_mul_hi_u32 v9, v7, v8
	v_add_co_u32_e32 v12, vcc, v13, v12
	v_addc_co_u32_e32 v13, vcc, 0, v14, vcc
	v_mul_lo_u32 v8, v7, v8
	v_add_co_u32_e32 v11, vcc, v12, v11
	v_addc_co_u32_e32 v10, vcc, v13, v10, vcc
	v_addc_co_u32_e32 v9, vcc, 0, v9, vcc
	v_add_co_u32_e32 v8, vcc, v10, v8
	v_addc_co_u32_e32 v9, vcc, 0, v9, vcc
	v_add_co_u32_e32 v4, vcc, v4, v8
	v_addc_co_u32_e32 v9, vcc, v7, v9, vcc
	v_mad_u64_u32 v[7:8], s[0:1], v5, v9, 0
	v_mul_hi_u32 v10, v5, v4
	v_add_co_u32_e32 v11, vcc, v10, v7
	v_addc_co_u32_e32 v12, vcc, 0, v8, vcc
	v_mad_u64_u32 v[7:8], s[0:1], v6, v4, 0
	v_mad_u64_u32 v[9:10], s[0:1], v6, v9, 0
	v_add_co_u32_e32 v4, vcc, v11, v7
	v_addc_co_u32_e32 v4, vcc, v12, v8, vcc
	v_addc_co_u32_e32 v7, vcc, 0, v10, vcc
	v_add_co_u32_e32 v4, vcc, v4, v9
	v_addc_co_u32_e32 v9, vcc, 0, v7, vcc
	v_mul_lo_u32 v10, s21, v4
	v_mul_lo_u32 v11, s20, v9
	v_mad_u64_u32 v[7:8], s[0:1], s20, v4, 0
	v_add3_u32 v8, v8, v11, v10
	v_sub_u32_e32 v10, v6, v8
	v_mov_b32_e32 v11, s21
	v_sub_co_u32_e32 v7, vcc, v5, v7
	v_subb_co_u32_e64 v10, s[0:1], v10, v11, vcc
	v_subrev_co_u32_e64 v11, s[0:1], s20, v7
	v_subbrev_co_u32_e64 v10, s[0:1], 0, v10, s[0:1]
	v_cmp_le_u32_e64 s[0:1], s21, v10
	v_cndmask_b32_e64 v12, 0, -1, s[0:1]
	v_cmp_le_u32_e64 s[0:1], s20, v11
	v_cndmask_b32_e64 v11, 0, -1, s[0:1]
	v_cmp_eq_u32_e64 s[0:1], s21, v10
	v_cndmask_b32_e64 v10, v12, v11, s[0:1]
	v_add_co_u32_e64 v11, s[0:1], 2, v4
	v_addc_co_u32_e64 v12, s[0:1], 0, v9, s[0:1]
	v_add_co_u32_e64 v13, s[0:1], 1, v4
	v_addc_co_u32_e64 v14, s[0:1], 0, v9, s[0:1]
	v_subb_co_u32_e32 v8, vcc, v6, v8, vcc
	v_cmp_ne_u32_e64 s[0:1], 0, v10
	v_cmp_le_u32_e32 vcc, s21, v8
	v_cndmask_b32_e64 v10, v14, v12, s[0:1]
	v_cndmask_b32_e64 v12, 0, -1, vcc
	v_cmp_le_u32_e32 vcc, s20, v7
	v_cndmask_b32_e64 v7, 0, -1, vcc
	v_cmp_eq_u32_e32 vcc, s21, v8
	v_cndmask_b32_e32 v7, v12, v7, vcc
	v_cmp_ne_u32_e32 vcc, 0, v7
	v_cndmask_b32_e64 v7, v13, v11, s[0:1]
	v_cndmask_b32_e32 v8, v9, v10, vcc
	v_cndmask_b32_e32 v7, v4, v7, vcc
.LBB0_4:                                ;   in Loop: Header=BB0_2 Depth=1
	s_andn2_saveexec_b64 s[0:1], s[22:23]
	s_cbranch_execz .LBB0_6
; %bb.5:                                ;   in Loop: Header=BB0_2 Depth=1
	v_cvt_f32_u32_e32 v4, s20
	s_sub_i32 s22, 0, s20
	v_rcp_iflag_f32_e32 v4, v4
	v_mul_f32_e32 v4, 0x4f7ffffe, v4
	v_cvt_u32_f32_e32 v4, v4
	v_mul_lo_u32 v7, s22, v4
	v_mul_hi_u32 v7, v4, v7
	v_add_u32_e32 v4, v4, v7
	v_mul_hi_u32 v4, v5, v4
	v_mul_lo_u32 v7, v4, s20
	v_add_u32_e32 v8, 1, v4
	v_sub_u32_e32 v7, v5, v7
	v_subrev_u32_e32 v9, s20, v7
	v_cmp_le_u32_e32 vcc, s20, v7
	v_cndmask_b32_e32 v7, v7, v9, vcc
	v_cndmask_b32_e32 v4, v4, v8, vcc
	v_add_u32_e32 v8, 1, v4
	v_cmp_le_u32_e32 vcc, s20, v7
	v_cndmask_b32_e32 v7, v4, v8, vcc
	v_mov_b32_e32 v8, v3
.LBB0_6:                                ;   in Loop: Header=BB0_2 Depth=1
	s_or_b64 exec, exec, s[0:1]
	v_mul_lo_u32 v4, v8, s20
	v_mul_lo_u32 v11, v7, s21
	v_mad_u64_u32 v[9:10], s[0:1], v7, s20, 0
	s_load_dwordx2 s[0:1], s[6:7], 0x0
	s_add_u32 s18, s18, 1
	v_add3_u32 v4, v10, v11, v4
	v_sub_co_u32_e32 v5, vcc, v5, v9
	v_subb_co_u32_e32 v4, vcc, v6, v4, vcc
	s_waitcnt lgkmcnt(0)
	v_mul_lo_u32 v4, s0, v4
	v_mul_lo_u32 v6, s1, v5
	v_mad_u64_u32 v[1:2], s[0:1], s0, v5, v[1:2]
	s_addc_u32 s19, s19, 0
	s_add_u32 s6, s6, 8
	v_add3_u32 v2, v6, v2, v4
	v_mov_b32_e32 v4, s10
	v_mov_b32_e32 v5, s11
	s_addc_u32 s7, s7, 0
	v_cmp_ge_u64_e32 vcc, s[18:19], v[4:5]
	s_add_u32 s16, s16, 8
	s_addc_u32 s17, s17, 0
	s_cbranch_vccnz .LBB0_9
; %bb.7:                                ;   in Loop: Header=BB0_2 Depth=1
	v_mov_b32_e32 v5, v7
	v_mov_b32_e32 v6, v8
	s_branch .LBB0_2
.LBB0_8:
	v_mov_b32_e32 v8, v6
	v_mov_b32_e32 v7, v5
.LBB0_9:
	s_lshl_b64 s[0:1], s[10:11], 3
	s_add_u32 s0, s14, s0
	s_addc_u32 s1, s15, s1
	s_load_dwordx2 s[6:7], s[0:1], 0x0
	s_load_dwordx2 s[10:11], s[4:5], 0x20
                                        ; implicit-def: $vgpr6
                                        ; implicit-def: $vgpr10
	s_waitcnt lgkmcnt(0)
	v_mad_u64_u32 v[1:2], s[0:1], s6, v7, v[1:2]
	s_mov_b32 s0, 0x12f684c
	v_mul_lo_u32 v3, s6, v8
	v_mul_lo_u32 v4, s7, v7
	v_mul_hi_u32 v5, v0, s0
	v_cmp_gt_u64_e32 vcc, s[10:11], v[7:8]
	v_cmp_le_u64_e64 s[0:1], s[10:11], v[7:8]
	v_add3_u32 v2, v4, v2, v3
	v_mul_u32_u24_e32 v3, 0xd8, v5
	v_sub_u32_e32 v0, v0, v3
                                        ; implicit-def: $vgpr4
                                        ; implicit-def: $vgpr7
                                        ; implicit-def: $vgpr8
	s_and_saveexec_b64 s[4:5], s[0:1]
	s_xor_b64 s[0:1], exec, s[4:5]
; %bb.10:
	v_add_u32_e32 v6, 0xd8, v0
	v_add_u32_e32 v4, 0x1b0, v0
	;; [unrolled: 1-line block ×5, first 2 shown]
; %bb.11:
	s_or_saveexec_b64 s[4:5], s[0:1]
	v_lshlrev_b64 v[2:3], 2, v[1:2]
                                        ; implicit-def: $vgpr15
                                        ; implicit-def: $vgpr28
                                        ; implicit-def: $vgpr14
                                        ; implicit-def: $vgpr29
                                        ; implicit-def: $vgpr22
                                        ; implicit-def: $vgpr1
                                        ; implicit-def: $vgpr21
                                        ; implicit-def: $vgpr30
                                        ; implicit-def: $vgpr24
                                        ; implicit-def: $vgpr13
                                        ; implicit-def: $vgpr23
                                        ; implicit-def: $vgpr31
                                        ; implicit-def: $vgpr16
                                        ; implicit-def: $vgpr12
                                        ; implicit-def: $vgpr11
                                        ; implicit-def: $vgpr25
                                        ; implicit-def: $vgpr18
                                        ; implicit-def: $vgpr5
                                        ; implicit-def: $vgpr17
                                        ; implicit-def: $vgpr26
                                        ; implicit-def: $vgpr20
                                        ; implicit-def: $vgpr9
                                        ; implicit-def: $vgpr19
                                        ; implicit-def: $vgpr27
	s_xor_b64 exec, exec, s[4:5]
	s_cbranch_execz .LBB0_13
; %bb.12:
	v_mad_u64_u32 v[5:6], s[0:1], s2, v0, 0
	v_add_u32_e32 v4, 0x1b0, v0
	v_mad_u64_u32 v[8:9], s[0:1], s2, v4, 0
	v_mov_b32_e32 v1, v6
	v_mad_u64_u32 v[6:7], s[0:1], s3, v0, v[1:2]
	v_mov_b32_e32 v10, s13
	v_add_co_u32_e64 v29, s[0:1], s12, v2
	v_mov_b32_e32 v1, v9
	v_addc_co_u32_e64 v30, s[0:1], v10, v3, s[0:1]
	v_mad_u64_u32 v[9:10], s[0:1], s3, v4, v[1:2]
	v_add_u32_e32 v7, 0x360, v0
	v_mad_u64_u32 v[10:11], s[0:1], s2, v7, 0
	v_lshlrev_b64 v[5:6], 2, v[5:6]
	v_add_co_u32_e64 v14, s[0:1], v29, v5
	v_mov_b32_e32 v1, v11
	v_addc_co_u32_e64 v15, s[0:1], v30, v6, s[0:1]
	v_lshlrev_b64 v[5:6], 2, v[8:9]
	v_mad_u64_u32 v[8:9], s[0:1], s3, v7, v[1:2]
	v_add_u32_e32 v9, 0x510, v0
	v_mad_u64_u32 v[12:13], s[0:1], s2, v9, 0
	v_add_co_u32_e64 v16, s[0:1], v29, v5
	v_mov_b32_e32 v11, v8
	v_mov_b32_e32 v1, v13
	v_addc_co_u32_e64 v17, s[0:1], v30, v6, s[0:1]
	v_lshlrev_b64 v[5:6], 2, v[10:11]
	v_mad_u64_u32 v[8:9], s[0:1], s3, v9, v[1:2]
	v_add_u32_e32 v11, 0x6c0, v0
	v_mad_u64_u32 v[9:10], s[0:1], s2, v11, 0
	v_add_co_u32_e64 v18, s[0:1], v29, v5
	v_mov_b32_e32 v13, v8
	;; [unrolled: 8-line block ×3, first 2 shown]
	v_addc_co_u32_e64 v21, s[0:1], v30, v6, s[0:1]
	v_mad_u64_u32 v[5:6], s[0:1], s3, v13, v[1:2]
	v_add_u32_e32 v6, 0xd8, v0
	v_mad_u64_u32 v[22:23], s[0:1], s2, v6, 0
	v_lshlrev_b64 v[8:9], 2, v[9:10]
	v_mov_b32_e32 v12, v5
	v_add_co_u32_e64 v32, s[0:1], v29, v8
	v_mov_b32_e32 v1, v23
	v_addc_co_u32_e64 v33, s[0:1], v30, v9, s[0:1]
	v_lshlrev_b64 v[8:9], 2, v[11:12]
	v_mad_u64_u32 v[11:12], s[0:1], s3, v6, v[1:2]
	v_add_u32_e32 v10, 0x288, v0
	v_mad_u64_u32 v[12:13], s[0:1], s2, v10, 0
	v_add_co_u32_e64 v34, s[0:1], v29, v8
	v_mov_b32_e32 v1, v13
	v_addc_co_u32_e64 v35, s[0:1], v30, v9, s[0:1]
	v_mad_u64_u32 v[24:25], s[0:1], s3, v10, v[1:2]
	v_add_u32_e32 v8, 0x438, v0
	v_mad_u64_u32 v[25:26], s[0:1], s2, v8, 0
	v_mov_b32_e32 v23, v11
	v_lshlrev_b64 v[22:23], 2, v[22:23]
	v_mov_b32_e32 v1, v26
	v_add_co_u32_e64 v22, s[0:1], v29, v22
	v_addc_co_u32_e64 v23, s[0:1], v30, v23, s[0:1]
	v_mad_u64_u32 v[26:27], s[0:1], s3, v8, v[1:2]
	v_add_u32_e32 v5, 0x5e8, v0
	v_mad_u64_u32 v[27:28], s[0:1], s2, v5, 0
	v_mov_b32_e32 v13, v24
	v_lshlrev_b64 v[11:12], 2, v[12:13]
	v_mov_b32_e32 v1, v28
	v_add_co_u32_e64 v36, s[0:1], v29, v11
	v_addc_co_u32_e64 v37, s[0:1], v30, v12, s[0:1]
	v_lshlrev_b64 v[11:12], 2, v[25:26]
	v_mad_u64_u32 v[24:25], s[0:1], s3, v5, v[1:2]
	v_add_u32_e32 v5, 0x798, v0
	v_mad_u64_u32 v[25:26], s[0:1], s2, v5, 0
	v_add_co_u32_e64 v38, s[0:1], v29, v11
	v_mov_b32_e32 v28, v24
	v_mov_b32_e32 v1, v26
	v_addc_co_u32_e64 v39, s[0:1], v30, v12, s[0:1]
	v_lshlrev_b64 v[11:12], 2, v[27:28]
	v_mad_u64_u32 v[26:27], s[0:1], s3, v5, v[1:2]
	v_add_u32_e32 v5, 0x948, v0
	v_mad_u64_u32 v[27:28], s[0:1], s2, v5, 0
	v_add_co_u32_e64 v40, s[0:1], v29, v11
	v_mov_b32_e32 v1, v28
	v_addc_co_u32_e64 v41, s[0:1], v30, v12, s[0:1]
	v_lshlrev_b64 v[11:12], 2, v[25:26]
	v_mad_u64_u32 v[24:25], s[0:1], s3, v5, v[1:2]
	v_add_co_u32_e64 v42, s[0:1], v29, v11
	v_mov_b32_e32 v28, v24
	v_addc_co_u32_e64 v43, s[0:1], v30, v12, s[0:1]
	v_lshlrev_b64 v[11:12], 2, v[27:28]
	v_add_co_u32_e64 v44, s[0:1], v29, v11
	v_addc_co_u32_e64 v45, s[0:1], v30, v12, s[0:1]
	global_load_dword v28, v[14:15], off
	global_load_dword v29, v[16:17], off
	;; [unrolled: 1-line block ×12, first 2 shown]
	s_waitcnt vmcnt(11)
	v_lshrrev_b32_e32 v15, 16, v28
	s_waitcnt vmcnt(10)
	v_lshrrev_b32_e32 v14, 16, v29
	;; [unrolled: 2-line block ×12, first 2 shown]
.LBB0_13:
	s_or_b64 exec, exec, s[4:5]
	v_add_f16_e32 v32, v1, v13
	v_fma_f16 v32, v32, -0.5, v28
	s_mov_b32 s1, 0xbaee
	s_movk_i32 s0, 0x3aee
	v_sub_f16_e32 v33, v22, v24
	v_fma_f16 v34, v33, s1, v32
	v_fma_f16 v32, v33, s0, v32
	v_add_f16_e32 v33, v30, v31
	v_fma_f16 v33, v33, -0.5, v29
	v_add_f16_e32 v29, v29, v30
	v_add_f16_e32 v29, v29, v31
	v_sub_f16_e32 v30, v30, v31
	v_add_f16_e32 v31, v21, v23
	v_sub_f16_e32 v35, v21, v23
	v_fma_f16 v31, v31, -0.5, v14
	v_add_f16_e32 v28, v28, v1
	v_fma_f16 v36, v35, s1, v33
	v_fma_f16 v33, v35, s0, v33
	;; [unrolled: 1-line block ×4, first 2 shown]
	v_add_f16_e32 v28, v28, v13
	v_add_f16_e32 v31, v28, v29
	v_sub_f16_e32 v28, v28, v29
	v_mul_f16_e32 v29, 0xbaee, v30
	v_fma_f16 v29, v33, -0.5, v29
	v_add_f16_e32 v37, v32, v29
	v_pack_b32_f16 v28, v37, v28
	v_mul_f16_e32 v37, 0xbaee, v35
	v_fma_f16 v37, v36, 0.5, v37
	v_add_f16_e32 v38, v34, v37
	v_pack_b32_f16 v31, v31, v38
	v_mul_u32_u24_e32 v38, 6, v0
	v_lshl_add_u32 v38, v38, 1, 0
	ds_write2_b32 v38, v31, v28 offset1:1
	v_add_f16_e32 v31, v5, v9
	v_sub_f16_e32 v29, v32, v29
	v_fma_f16 v31, v31, -0.5, v12
	v_sub_f16_e32 v32, v18, v20
	v_sub_f16_e32 v28, v34, v37
	v_fma_f16 v34, v32, s1, v31
	v_fma_f16 v31, v32, s0, v31
	v_add_f16_e32 v32, v26, v27
	v_fma_f16 v32, v32, -0.5, v25
	v_add_f16_e32 v25, v25, v26
	v_add_f16_e32 v25, v25, v27
	v_sub_f16_e32 v26, v26, v27
	v_add_f16_e32 v27, v17, v19
	v_add_f16_e32 v12, v12, v5
	v_sub_f16_e32 v37, v17, v19
	v_fma_f16 v27, v27, -0.5, v11
	v_add_f16_e32 v12, v12, v9
	v_fma_f16 v39, v37, s1, v32
	v_fma_f16 v32, v37, s0, v32
	;; [unrolled: 1-line block ×4, first 2 shown]
	v_add_f16_e32 v27, v12, v25
	v_sub_f16_e32 v12, v12, v25
	v_pack_b32_f16 v25, v28, v29
	ds_write_b32 v38, v25 offset:8
	v_mul_f16_e32 v25, 0xbaee, v26
	v_fma_f16 v25, v32, -0.5, v25
	v_add_f16_e32 v28, v31, v25
	v_pack_b32_f16 v28, v28, v12
	v_mul_f16_e32 v12, 0xbaee, v37
	v_fma_f16 v29, v39, 0.5, v12
	v_add_f16_e32 v12, v34, v29
	v_pack_b32_f16 v27, v27, v12
	v_mul_i32_i24_e32 v12, 6, v6
	v_lshl_add_u32 v12, v12, 1, 0
	ds_write2_b32 v12, v27, v28 offset1:1
	v_add_f16_e32 v27, v15, v22
	v_add_f16_e32 v22, v22, v24
	v_fma_f16 v15, v22, -0.5, v15
	v_sub_f16_e32 v1, v1, v13
	v_mul_f16_e32 v13, 0x3aee, v36
	v_add_f16_e32 v27, v27, v24
	v_fma_f16 v22, v1, s0, v15
	v_fma_f16 v24, v1, s1, v15
	v_add_f16_e32 v1, v14, v21
	v_fma_f16 v21, v35, 0.5, v13
	v_mul_f16_e32 v13, -0.5, v30
	v_add_f16_e32 v1, v1, v23
	v_fma_f16 v23, v33, s0, v13
	v_add_f16_e32 v28, v27, v1
	v_sub_f16_e32 v1, v27, v1
	v_sub_f16_e32 v13, v34, v29
	v_add_f16_e32 v27, v22, v21
	v_sub_f16_e32 v14, v31, v25
	v_add_f16_e32 v15, v24, v23
	v_sub_f16_e32 v21, v22, v21
	v_sub_f16_e32 v22, v24, v23
	v_pack_b32_f16 v13, v13, v14
	v_pack_b32_f16 v25, v15, v1
	v_mad_i32_i24 v1, v6, -10, v12
	v_pack_b32_f16 v21, v21, v22
	ds_write_b32 v12, v13 offset:8
	s_waitcnt lgkmcnt(0)
	s_barrier
	v_mad_i32_i24 v13, v0, -10, v38
	v_lshl_add_u32 v14, v4, 1, 0
	v_lshl_add_u32 v15, v7, 1, 0
	v_pack_b32_f16 v27, v28, v27
	ds_read_u16 v28, v1
	ds_read_u16 v29, v13
	ds_read_u16 v30, v13 offset:1296
	ds_read_u16 v31, v13 offset:4320
	;; [unrolled: 1-line block ×7, first 2 shown]
	ds_read_u16 v41, v15
	ds_read_u16 v42, v14
	ds_read_u16 v43, v13 offset:4752
	s_waitcnt lgkmcnt(0)
	s_barrier
	ds_write_b32 v38, v21 offset:8
	v_add_f16_e32 v21, v16, v18
	v_add_f16_e32 v18, v18, v20
	v_fma_f16 v16, v18, -0.5, v16
	v_sub_f16_e32 v5, v5, v9
	v_fma_f16 v9, v5, s0, v16
	v_fma_f16 v5, v5, s1, v16
	v_add_f16_e32 v11, v11, v17
	v_mul_f16_e32 v16, 0x3aee, v39
	v_mul_f16_e32 v17, -0.5, v26
	v_fma_f16 v16, v37, 0.5, v16
	v_fma_f16 v17, v32, s0, v17
	v_add_f16_e32 v11, v11, v19
	v_add_f16_e32 v19, v9, v16
	v_sub_f16_e32 v9, v9, v16
	v_add_f16_e32 v16, v5, v17
	v_sub_f16_e32 v5, v5, v17
	v_pack_b32_f16 v5, v9, v5
	s_movk_i32 s4, 0xab
	ds_write2_b32 v38, v27, v25 offset1:1
	v_add_f16_e32 v21, v21, v20
	ds_write_b32 v12, v5 offset:8
	v_mul_lo_u16_sdwa v5, v0, s4 dst_sel:DWORD dst_unused:UNUSED_PAD src0_sel:BYTE_0 src1_sel:DWORD
	v_add_f16_e32 v18, v21, v11
	v_sub_f16_e32 v11, v21, v11
	v_lshrrev_b16_e32 v5, 10, v5
	v_pack_b32_f16 v11, v16, v11
	v_pack_b32_f16 v16, v18, v19
	v_mul_lo_u16_e32 v9, 6, v5
	ds_write2_b32 v12, v16, v11 offset1:1
	v_sub_u16_e32 v9, v0, v9
	v_mov_b32_e32 v11, 5
	v_mul_u32_u24_sdwa v16, v9, v11 dst_sel:DWORD dst_unused:UNUSED_PAD src0_sel:BYTE_0 src1_sel:DWORD
	v_lshlrev_b32_e32 v24, 2, v16
	s_waitcnt lgkmcnt(0)
	s_barrier
	global_load_dwordx4 v[16:19], v24, s[8:9]
	s_mov_b32 s4, 0xaaab
	v_mul_u32_u24_sdwa v20, v6, s4 dst_sel:DWORD dst_unused:UNUSED_PAD src0_sel:WORD_0 src1_sel:DWORD
	v_lshrrev_b32_e32 v25, 18, v20
	v_mul_lo_u16_e32 v20, 6, v25
	v_sub_u16_e32 v26, v6, v20
	v_mul_u32_u24_e32 v20, 5, v26
	v_lshlrev_b32_e32 v27, 2, v20
	global_load_dwordx4 v[20:23], v27, s[8:9]
	global_load_dword v32, v24, s[8:9] offset:16
	global_load_dword v37, v27, s[8:9] offset:16
	ds_read_u16 v24, v1
	ds_read_u16 v27, v14
	;; [unrolled: 1-line block ×3, first 2 shown]
	ds_read_u16 v39, v13 offset:4752
	v_mul_u32_u24_e32 v5, 0x48, v5
	s_mov_b32 s4, 0xe38f
	s_waitcnt vmcnt(3) lgkmcnt(2)
	v_mul_f16_sdwa v44, v27, v16 dst_sel:DWORD dst_unused:UNUSED_PAD src0_sel:DWORD src1_sel:WORD_1
	v_fma_f16 v44, v42, v16, v44
	v_mul_f16_sdwa v42, v42, v16 dst_sel:DWORD dst_unused:UNUSED_PAD src0_sel:DWORD src1_sel:WORD_1
	v_fma_f16 v16, v27, v16, -v42
	s_waitcnt lgkmcnt(1)
	v_mul_f16_sdwa v27, v38, v17 dst_sel:DWORD dst_unused:UNUSED_PAD src0_sel:DWORD src1_sel:WORD_1
	v_fma_f16 v27, v41, v17, v27
	v_mul_f16_sdwa v41, v41, v17 dst_sel:DWORD dst_unused:UNUSED_PAD src0_sel:DWORD src1_sel:WORD_1
	v_fma_f16 v17, v38, v17, -v41
	ds_read_u16 v38, v13 offset:2592
	ds_read_u16 v41, v13 offset:3024
	ds_read_u16 v42, v13 offset:4320
	ds_read_u16 v45, v13 offset:3888
	ds_read_u16 v46, v13 offset:3456
	ds_read_u16 v47, v13 offset:2160
	s_waitcnt lgkmcnt(5)
	v_mul_f16_sdwa v48, v38, v18 dst_sel:DWORD dst_unused:UNUSED_PAD src0_sel:DWORD src1_sel:WORD_1
	v_fma_f16 v48, v36, v18, v48
	v_mul_f16_sdwa v36, v36, v18 dst_sel:DWORD dst_unused:UNUSED_PAD src0_sel:DWORD src1_sel:WORD_1
	v_fma_f16 v18, v38, v18, -v36
	ds_read_u16 v38, v13 offset:1296
	s_waitcnt lgkmcnt(2)
	v_mul_f16_sdwa v36, v46, v19 dst_sel:DWORD dst_unused:UNUSED_PAD src0_sel:DWORD src1_sel:WORD_1
	v_fma_f16 v36, v34, v19, v36
	v_mul_f16_sdwa v34, v34, v19 dst_sel:DWORD dst_unused:UNUSED_PAD src0_sel:DWORD src1_sel:WORD_1
	v_fma_f16 v19, v46, v19, -v34
	ds_read_u16 v34, v13
	s_waitcnt vmcnt(2) lgkmcnt(1)
	v_mul_f16_sdwa v46, v38, v20 dst_sel:DWORD dst_unused:UNUSED_PAD src0_sel:DWORD src1_sel:WORD_1
	v_fma_f16 v46, v30, v20, v46
	v_mul_f16_sdwa v30, v30, v20 dst_sel:DWORD dst_unused:UNUSED_PAD src0_sel:DWORD src1_sel:WORD_1
	v_fma_f16 v20, v38, v20, -v30
	v_mul_f16_sdwa v30, v47, v21 dst_sel:DWORD dst_unused:UNUSED_PAD src0_sel:DWORD src1_sel:WORD_1
	v_mul_f16_sdwa v38, v40, v21 dst_sel:DWORD dst_unused:UNUSED_PAD src0_sel:DWORD src1_sel:WORD_1
	v_fma_f16 v30, v40, v21, v30
	v_fma_f16 v21, v47, v21, -v38
	v_mul_f16_sdwa v38, v41, v22 dst_sel:DWORD dst_unused:UNUSED_PAD src0_sel:DWORD src1_sel:WORD_1
	v_fma_f16 v38, v35, v22, v38
	v_mul_f16_sdwa v35, v35, v22 dst_sel:DWORD dst_unused:UNUSED_PAD src0_sel:DWORD src1_sel:WORD_1
	v_fma_f16 v22, v41, v22, -v35
	v_mul_f16_sdwa v35, v45, v23 dst_sel:DWORD dst_unused:UNUSED_PAD src0_sel:DWORD src1_sel:WORD_1
	v_fma_f16 v35, v33, v23, v35
	v_mul_f16_sdwa v33, v33, v23 dst_sel:DWORD dst_unused:UNUSED_PAD src0_sel:DWORD src1_sel:WORD_1
	v_fma_f16 v23, v45, v23, -v33
	s_waitcnt vmcnt(1)
	v_mul_f16_sdwa v33, v42, v32 dst_sel:DWORD dst_unused:UNUSED_PAD src0_sel:DWORD src1_sel:WORD_1
	v_fma_f16 v33, v31, v32, v33
	v_mul_f16_sdwa v31, v31, v32 dst_sel:DWORD dst_unused:UNUSED_PAD src0_sel:DWORD src1_sel:WORD_1
	v_fma_f16 v31, v42, v32, -v31
	s_waitcnt vmcnt(0)
	v_mul_f16_sdwa v32, v39, v37 dst_sel:DWORD dst_unused:UNUSED_PAD src0_sel:DWORD src1_sel:WORD_1
	v_mul_f16_sdwa v40, v43, v37 dst_sel:DWORD dst_unused:UNUSED_PAD src0_sel:DWORD src1_sel:WORD_1
	v_fma_f16 v32, v43, v37, v32
	v_fma_f16 v37, v39, v37, -v40
	v_add_f16_e32 v39, v27, v36
	v_fma_f16 v39, v39, -0.5, v29
	v_sub_f16_e32 v40, v17, v19
	v_fma_f16 v41, v40, s1, v39
	v_fma_f16 v39, v40, s0, v39
	s_waitcnt lgkmcnt(0)
	v_add_f16_e32 v40, v34, v17
	v_add_f16_e32 v17, v17, v19
	;; [unrolled: 1-line block ×3, first 2 shown]
	v_fma_f16 v17, v17, -0.5, v34
	v_add_f16_e32 v19, v29, v27
	v_sub_f16_e32 v27, v27, v36
	v_fma_f16 v29, v27, s0, v17
	v_fma_f16 v17, v27, s1, v17
	v_add_f16_e32 v27, v48, v33
	v_fma_f16 v27, v27, -0.5, v44
	v_sub_f16_e32 v34, v18, v31
	v_add_f16_e32 v19, v19, v36
	v_fma_f16 v36, v34, s1, v27
	v_fma_f16 v27, v34, s0, v27
	v_add_f16_e32 v34, v16, v18
	v_add_f16_e32 v18, v18, v31
	;; [unrolled: 1-line block ×3, first 2 shown]
	v_fma_f16 v16, v18, -0.5, v16
	v_add_f16_e32 v18, v44, v48
	v_sub_f16_e32 v31, v48, v33
	v_add_f16_e32 v18, v18, v33
	v_fma_f16 v33, v31, s0, v16
	v_fma_f16 v16, v31, s1, v16
	v_mul_f16_e32 v31, 0xbaee, v33
	v_mul_f16_e32 v33, 0.5, v33
	v_fma_f16 v31, v36, 0.5, v31
	v_fma_f16 v33, v36, s0, v33
	v_mul_f16_e32 v36, 0xbaee, v16
	v_mul_f16_e32 v16, -0.5, v16
	v_fma_f16 v36, v27, -0.5, v36
	v_fma_f16 v16, v27, s0, v16
	v_add_f16_e32 v27, v19, v18
	v_sub_f16_e32 v18, v19, v18
	v_add_f16_e32 v19, v41, v31
	v_sub_f16_e32 v31, v41, v31
	;; [unrolled: 2-line block ×6, first 2 shown]
	v_add_f16_e32 v17, v30, v35
	v_fma_f16 v17, v17, -0.5, v28
	v_sub_f16_e32 v42, v21, v23
	v_fma_f16 v43, v42, s1, v17
	v_fma_f16 v17, v42, s0, v17
	v_add_f16_e32 v42, v38, v32
	v_fma_f16 v42, v42, -0.5, v46
	v_sub_f16_e32 v44, v22, v37
	v_fma_f16 v45, v44, s1, v42
	v_fma_f16 v42, v44, s0, v42
	v_add_f16_e32 v44, v46, v38
	v_add_f16_e32 v44, v44, v32
	v_sub_f16_e32 v32, v38, v32
	v_add_f16_e32 v38, v22, v37
	v_fma_f16 v38, v38, -0.5, v20
	v_add_f16_e32 v28, v28, v30
	v_fma_f16 v46, v32, s0, v38
	v_add_f16_e32 v28, v28, v35
	v_fma_f16 v32, v32, s1, v38
	v_add_f16_e32 v38, v28, v44
	v_sub_f16_e32 v28, v28, v44
	v_mul_f16_e32 v44, 0xbaee, v46
	v_fma_f16 v44, v45, 0.5, v44
	v_add_f16_e32 v47, v43, v44
	v_sub_f16_e32 v43, v43, v44
	v_mul_f16_e32 v44, 0xbaee, v32
	v_fma_f16 v44, v42, -0.5, v44
	v_add_f16_e32 v48, v17, v44
	v_sub_f16_e32 v17, v17, v44
	v_mov_b32_e32 v44, 1
	v_lshlrev_b32_sdwa v9, v44, v9 dst_sel:DWORD dst_unused:UNUSED_PAD src0_sel:DWORD src1_sel:BYTE_0
	v_add3_u32 v5, 0, v5, v9
	s_barrier
	ds_write_b16 v5, v27
	ds_write_b16 v5, v19 offset:12
	ds_write_b16 v5, v41 offset:24
	;; [unrolled: 1-line block ×5, first 2 shown]
	v_mul_u32_u24_e32 v9, 0x48, v25
	v_lshlrev_b32_e32 v18, 1, v26
	v_add3_u32 v9, 0, v9, v18
	ds_write_b16 v9, v38
	ds_write_b16 v9, v47 offset:12
	ds_write_b16 v9, v48 offset:24
	;; [unrolled: 1-line block ×5, first 2 shown]
	s_waitcnt lgkmcnt(0)
	s_barrier
	ds_read_u16 v25, v1
	ds_read_u16 v26, v13
	ds_read_u16 v27, v13 offset:1296
	ds_read_u16 v28, v13 offset:4320
	;; [unrolled: 1-line block ×7, first 2 shown]
	ds_read_u16 v47, v15
	ds_read_u16 v48, v14
	ds_read_u16 v49, v13 offset:4752
	s_waitcnt lgkmcnt(0)
	s_barrier
	ds_write_b16 v5, v39
	ds_write_b16 v5, v40 offset:12
	ds_write_b16 v5, v33 offset:24
	;; [unrolled: 1-line block ×5, first 2 shown]
	v_add_f16_e32 v16, v21, v23
	v_fma_f16 v16, v16, -0.5, v24
	v_sub_f16_e32 v17, v30, v35
	v_add_f16_e32 v5, v24, v21
	v_fma_f16 v18, v17, s0, v16
	v_fma_f16 v16, v17, s1, v16
	v_add_f16_e32 v17, v20, v22
	v_add_f16_e32 v5, v5, v23
	;; [unrolled: 1-line block ×3, first 2 shown]
	v_mul_f16_e32 v19, 0.5, v46
	v_mul_f16_e32 v20, -0.5, v32
	v_fma_f16 v19, v45, s0, v19
	v_fma_f16 v20, v42, s0, v20
	v_add_f16_e32 v21, v5, v17
	v_sub_f16_e32 v5, v5, v17
	v_add_f16_e32 v17, v18, v19
	v_sub_f16_e32 v18, v18, v19
	v_add_f16_e32 v19, v16, v20
	v_sub_f16_e32 v16, v16, v20
	ds_write_b16 v9, v21
	ds_write_b16 v9, v17 offset:12
	ds_write_b16 v9, v19 offset:24
	;; [unrolled: 1-line block ×5, first 2 shown]
	v_mov_b32_e32 v5, 57
	v_mul_lo_u16_sdwa v5, v0, v5 dst_sel:DWORD dst_unused:UNUSED_PAD src0_sel:BYTE_0 src1_sel:DWORD
	v_lshrrev_b16_e32 v5, 11, v5
	v_mul_lo_u16_e32 v9, 36, v5
	v_sub_u16_e32 v9, v0, v9
	v_mul_u32_u24_sdwa v11, v9, v11 dst_sel:DWORD dst_unused:UNUSED_PAD src0_sel:BYTE_0 src1_sel:DWORD
	v_lshlrev_b32_e32 v11, 2, v11
	s_waitcnt lgkmcnt(0)
	s_barrier
	global_load_dwordx4 v[16:19], v11, s[8:9] offset:120
	v_mul_u32_u24_sdwa v20, v6, s4 dst_sel:DWORD dst_unused:UNUSED_PAD src0_sel:WORD_0 src1_sel:DWORD
	v_lshrrev_b32_e32 v24, 21, v20
	v_mul_lo_u16_e32 v20, 36, v24
	v_sub_u16_e32 v29, v6, v20
	v_mul_u32_u24_e32 v20, 5, v29
	v_lshlrev_b32_e32 v30, 2, v20
	global_load_dwordx4 v[20:23], v30, s[8:9] offset:120
	global_load_dword v32, v11, s[8:9] offset:136
	global_load_dword v33, v30, s[8:9] offset:136
	ds_read_u16 v11, v1
	ds_read_u16 v30, v14
	;; [unrolled: 1-line block ×3, first 2 shown]
	ds_read_u16 v35, v13 offset:4752
	v_lshlrev_b32_sdwa v9, v44, v9 dst_sel:DWORD dst_unused:UNUSED_PAD src0_sel:DWORD src1_sel:BYTE_0
	v_mul_u32_u24_e32 v5, 0x1b0, v5
	v_add3_u32 v5, 0, v5, v9
	v_mul_u32_u24_e32 v9, 0x1b0, v24
	s_waitcnt vmcnt(3) lgkmcnt(2)
	v_mul_f16_sdwa v37, v30, v16 dst_sel:DWORD dst_unused:UNUSED_PAD src0_sel:DWORD src1_sel:WORD_1
	v_mul_f16_sdwa v39, v48, v16 dst_sel:DWORD dst_unused:UNUSED_PAD src0_sel:DWORD src1_sel:WORD_1
	v_fma_f16 v37, v48, v16, v37
	v_fma_f16 v16, v30, v16, -v39
	s_waitcnt lgkmcnt(1)
	v_mul_f16_sdwa v30, v34, v17 dst_sel:DWORD dst_unused:UNUSED_PAD src0_sel:DWORD src1_sel:WORD_1
	v_mul_f16_sdwa v39, v47, v17 dst_sel:DWORD dst_unused:UNUSED_PAD src0_sel:DWORD src1_sel:WORD_1
	v_fma_f16 v30, v47, v17, v30
	v_fma_f16 v17, v34, v17, -v39
	ds_read_u16 v34, v13 offset:2592
	ds_read_u16 v39, v13 offset:3024
	;; [unrolled: 1-line block ×6, first 2 shown]
	s_waitcnt lgkmcnt(5)
	v_mul_f16_sdwa v47, v34, v18 dst_sel:DWORD dst_unused:UNUSED_PAD src0_sel:DWORD src1_sel:WORD_1
	v_fma_f16 v47, v41, v18, v47
	v_mul_f16_sdwa v41, v41, v18 dst_sel:DWORD dst_unused:UNUSED_PAD src0_sel:DWORD src1_sel:WORD_1
	v_fma_f16 v18, v34, v18, -v41
	ds_read_u16 v41, v13 offset:1296
	s_waitcnt lgkmcnt(2)
	v_mul_f16_sdwa v34, v45, v19 dst_sel:DWORD dst_unused:UNUSED_PAD src0_sel:DWORD src1_sel:WORD_1
	v_fma_f16 v34, v36, v19, v34
	v_mul_f16_sdwa v36, v36, v19 dst_sel:DWORD dst_unused:UNUSED_PAD src0_sel:DWORD src1_sel:WORD_1
	v_fma_f16 v19, v45, v19, -v36
	ds_read_u16 v36, v13
	s_waitcnt vmcnt(2) lgkmcnt(1)
	v_mul_f16_sdwa v45, v41, v20 dst_sel:DWORD dst_unused:UNUSED_PAD src0_sel:DWORD src1_sel:WORD_1
	v_fma_f16 v45, v27, v20, v45
	v_mul_f16_sdwa v27, v27, v20 dst_sel:DWORD dst_unused:UNUSED_PAD src0_sel:DWORD src1_sel:WORD_1
	v_fma_f16 v20, v41, v20, -v27
	v_mul_f16_sdwa v27, v46, v21 dst_sel:DWORD dst_unused:UNUSED_PAD src0_sel:DWORD src1_sel:WORD_1
	v_mul_f16_sdwa v41, v43, v21 dst_sel:DWORD dst_unused:UNUSED_PAD src0_sel:DWORD src1_sel:WORD_1
	v_fma_f16 v27, v43, v21, v27
	v_fma_f16 v21, v46, v21, -v41
	v_mul_f16_sdwa v41, v39, v22 dst_sel:DWORD dst_unused:UNUSED_PAD src0_sel:DWORD src1_sel:WORD_1
	v_fma_f16 v41, v38, v22, v41
	v_mul_f16_sdwa v38, v38, v22 dst_sel:DWORD dst_unused:UNUSED_PAD src0_sel:DWORD src1_sel:WORD_1
	v_fma_f16 v22, v39, v22, -v38
	v_mul_f16_sdwa v38, v42, v23 dst_sel:DWORD dst_unused:UNUSED_PAD src0_sel:DWORD src1_sel:WORD_1
	v_fma_f16 v38, v31, v23, v38
	v_mul_f16_sdwa v31, v31, v23 dst_sel:DWORD dst_unused:UNUSED_PAD src0_sel:DWORD src1_sel:WORD_1
	v_fma_f16 v23, v42, v23, -v31
	s_waitcnt vmcnt(1)
	v_mul_f16_sdwa v31, v40, v32 dst_sel:DWORD dst_unused:UNUSED_PAD src0_sel:DWORD src1_sel:WORD_1
	v_fma_f16 v31, v28, v32, v31
	v_mul_f16_sdwa v28, v28, v32 dst_sel:DWORD dst_unused:UNUSED_PAD src0_sel:DWORD src1_sel:WORD_1
	v_fma_f16 v28, v40, v32, -v28
	s_waitcnt vmcnt(0)
	v_mul_f16_sdwa v32, v35, v33 dst_sel:DWORD dst_unused:UNUSED_PAD src0_sel:DWORD src1_sel:WORD_1
	v_mul_f16_sdwa v39, v49, v33 dst_sel:DWORD dst_unused:UNUSED_PAD src0_sel:DWORD src1_sel:WORD_1
	v_fma_f16 v32, v49, v33, v32
	v_fma_f16 v33, v35, v33, -v39
	v_add_f16_e32 v35, v30, v34
	v_fma_f16 v35, v35, -0.5, v26
	v_sub_f16_e32 v39, v17, v19
	v_fma_f16 v40, v39, s1, v35
	v_fma_f16 v35, v39, s0, v35
	s_waitcnt lgkmcnt(0)
	v_add_f16_e32 v39, v36, v17
	v_add_f16_e32 v17, v17, v19
	;; [unrolled: 1-line block ×3, first 2 shown]
	v_fma_f16 v17, v17, -0.5, v36
	v_add_f16_e32 v19, v26, v30
	v_sub_f16_e32 v26, v30, v34
	v_fma_f16 v30, v26, s0, v17
	v_fma_f16 v17, v26, s1, v17
	v_add_f16_e32 v26, v47, v31
	v_add_f16_e32 v19, v19, v34
	v_fma_f16 v26, v26, -0.5, v37
	v_sub_f16_e32 v34, v18, v28
	v_fma_f16 v36, v34, s1, v26
	v_fma_f16 v26, v34, s0, v26
	v_add_f16_e32 v34, v16, v18
	v_add_f16_e32 v18, v18, v28
	;; [unrolled: 1-line block ×3, first 2 shown]
	v_fma_f16 v16, v18, -0.5, v16
	v_add_f16_e32 v18, v37, v47
	v_sub_f16_e32 v28, v47, v31
	v_add_f16_e32 v18, v18, v31
	v_fma_f16 v31, v28, s0, v16
	v_fma_f16 v16, v28, s1, v16
	v_mul_f16_e32 v28, 0xbaee, v31
	v_mul_f16_e32 v31, 0.5, v31
	v_fma_f16 v28, v36, 0.5, v28
	v_fma_f16 v31, v36, s0, v31
	v_mul_f16_e32 v36, 0xbaee, v16
	v_mul_f16_e32 v16, -0.5, v16
	v_fma_f16 v36, v26, -0.5, v36
	v_fma_f16 v16, v26, s0, v16
	v_add_f16_e32 v37, v35, v36
	v_sub_f16_e32 v35, v35, v36
	v_add_f16_e32 v36, v39, v34
	v_sub_f16_e32 v34, v39, v34
	;; [unrolled: 2-line block ×4, first 2 shown]
	v_add_f16_e32 v17, v27, v38
	v_add_f16_e32 v26, v19, v18
	v_sub_f16_e32 v18, v19, v18
	v_add_f16_e32 v19, v40, v28
	v_sub_f16_e32 v28, v40, v28
	v_fma_f16 v17, v17, -0.5, v25
	v_sub_f16_e32 v40, v21, v23
	v_fma_f16 v42, v40, s1, v17
	v_fma_f16 v17, v40, s0, v17
	v_add_f16_e32 v40, v41, v32
	v_fma_f16 v40, v40, -0.5, v45
	v_sub_f16_e32 v43, v22, v33
	v_fma_f16 v46, v43, s1, v40
	v_fma_f16 v40, v43, s0, v40
	v_add_f16_e32 v43, v45, v41
	v_add_f16_e32 v43, v43, v32
	v_sub_f16_e32 v32, v41, v32
	v_add_f16_e32 v41, v22, v33
	v_fma_f16 v41, v41, -0.5, v20
	v_add_f16_e32 v25, v25, v27
	v_fma_f16 v45, v32, s0, v41
	v_add_f16_e32 v25, v25, v38
	v_fma_f16 v32, v32, s1, v41
	v_add_f16_e32 v41, v25, v43
	v_sub_f16_e32 v25, v25, v43
	v_mul_f16_e32 v43, 0xbaee, v45
	v_fma_f16 v43, v46, 0.5, v43
	v_add_f16_e32 v47, v42, v43
	v_sub_f16_e32 v42, v42, v43
	v_mul_f16_e32 v43, 0xbaee, v32
	s_barrier
	ds_write_b16 v5, v26
	ds_write_b16 v5, v19 offset:72
	ds_write_b16 v5, v37 offset:144
	;; [unrolled: 1-line block ×5, first 2 shown]
	v_lshlrev_b32_e32 v18, 1, v29
	v_fma_f16 v43, v40, -0.5, v43
	v_add3_u32 v9, 0, v9, v18
	v_add_f16_e32 v48, v17, v43
	v_sub_f16_e32 v17, v17, v43
	ds_write_b16 v9, v41
	ds_write_b16 v9, v47 offset:72
	ds_write_b16 v9, v48 offset:144
	;; [unrolled: 1-line block ×5, first 2 shown]
	s_waitcnt lgkmcnt(0)
	s_barrier
	ds_read_u16 v24, v1
	ds_read_u16 v25, v13
	ds_read_u16 v26, v13 offset:1296
	ds_read_u16 v28, v13 offset:4320
	;; [unrolled: 1-line block ×7, first 2 shown]
	ds_read_u16 v43, v15
	ds_read_u16 v44, v14
	ds_read_u16 v47, v13 offset:4752
	s_waitcnt lgkmcnt(0)
	s_barrier
	ds_write_b16 v5, v36
	ds_write_b16 v5, v39 offset:72
	ds_write_b16 v5, v31 offset:144
	;; [unrolled: 1-line block ×5, first 2 shown]
	v_add_f16_e32 v16, v21, v23
	v_add_f16_e32 v5, v11, v21
	v_fma_f16 v11, v16, -0.5, v11
	v_sub_f16_e32 v16, v27, v38
	v_fma_f16 v17, v16, s0, v11
	v_fma_f16 v11, v16, s1, v11
	v_add_f16_e32 v16, v20, v22
	v_add_f16_e32 v5, v5, v23
	;; [unrolled: 1-line block ×3, first 2 shown]
	v_mul_f16_e32 v18, 0.5, v45
	v_mul_f16_e32 v19, -0.5, v32
	v_fma_f16 v18, v46, s0, v18
	v_fma_f16 v19, v40, s0, v19
	v_add_f16_e32 v20, v5, v16
	v_sub_f16_e32 v5, v5, v16
	v_add_f16_e32 v16, v17, v18
	v_sub_f16_e32 v17, v17, v18
	v_add_f16_e32 v18, v11, v19
	v_sub_f16_e32 v11, v11, v19
	ds_write_b16 v9, v20
	ds_write_b16 v9, v16 offset:72
	ds_write_b16 v9, v18 offset:144
	ds_write_b16 v9, v5 offset:216
	ds_write_b16 v9, v17 offset:288
	ds_write_b16 v9, v11 offset:360
	v_mul_u32_u24_e32 v5, 5, v0
	v_lshlrev_b32_e32 v5, 2, v5
	s_waitcnt lgkmcnt(0)
	s_barrier
	global_load_dwordx4 v[16:19], v5, s[8:9] offset:840
	global_load_dword v9, v5, s[8:9] offset:856
	ds_read_u16 v5, v1
	ds_read_u16 v11, v14
	;; [unrolled: 1-line block ×3, first 2 shown]
	ds_read_u16 v21, v13 offset:4752
	s_waitcnt vmcnt(1)
	v_mul_f16_sdwa v23, v44, v16 dst_sel:DWORD dst_unused:UNUSED_PAD src0_sel:DWORD src1_sel:WORD_1
	v_mul_f16_sdwa v27, v43, v17 dst_sel:DWORD dst_unused:UNUSED_PAD src0_sel:DWORD src1_sel:WORD_1
	s_waitcnt lgkmcnt(2)
	v_mul_f16_sdwa v22, v11, v16 dst_sel:DWORD dst_unused:UNUSED_PAD src0_sel:DWORD src1_sel:WORD_1
	v_fma_f16 v11, v11, v16, -v23
	s_waitcnt lgkmcnt(1)
	v_mul_f16_sdwa v23, v20, v17 dst_sel:DWORD dst_unused:UNUSED_PAD src0_sel:DWORD src1_sel:WORD_1
	v_fma_f16 v20, v20, v17, -v27
	ds_read_u16 v27, v13 offset:2592
	ds_read_u16 v30, v13 offset:3024
	;; [unrolled: 1-line block ×7, first 2 shown]
	v_mul_f16_sdwa v38, v41, v18 dst_sel:DWORD dst_unused:UNUSED_PAD src0_sel:DWORD src1_sel:WORD_1
	s_waitcnt lgkmcnt(6)
	v_mul_f16_sdwa v36, v27, v18 dst_sel:DWORD dst_unused:UNUSED_PAD src0_sel:DWORD src1_sel:WORD_1
	v_fma_f16 v27, v27, v18, -v38
	s_waitcnt lgkmcnt(2)
	v_mul_f16_sdwa v38, v33, v19 dst_sel:DWORD dst_unused:UNUSED_PAD src0_sel:DWORD src1_sel:WORD_1
	v_fma_f16 v38, v35, v19, v38
	v_mul_f16_sdwa v35, v35, v19 dst_sel:DWORD dst_unused:UNUSED_PAD src0_sel:DWORD src1_sel:WORD_1
	v_fma_f16 v33, v33, v19, -v35
	ds_read_u16 v35, v13
	s_waitcnt lgkmcnt(1)
	v_mul_f16_sdwa v40, v39, v16 dst_sel:DWORD dst_unused:UNUSED_PAD src0_sel:DWORD src1_sel:WORD_1
	v_fma_f16 v40, v26, v16, v40
	v_mul_f16_sdwa v26, v26, v16 dst_sel:DWORD dst_unused:UNUSED_PAD src0_sel:DWORD src1_sel:WORD_1
	v_fma_f16 v22, v44, v16, v22
	v_fma_f16 v16, v39, v16, -v26
	v_mul_f16_sdwa v26, v34, v17 dst_sel:DWORD dst_unused:UNUSED_PAD src0_sel:DWORD src1_sel:WORD_1
	v_mul_f16_sdwa v39, v42, v17 dst_sel:DWORD dst_unused:UNUSED_PAD src0_sel:DWORD src1_sel:WORD_1
	v_fma_f16 v23, v43, v17, v23
	v_fma_f16 v26, v42, v17, v26
	v_fma_f16 v17, v34, v17, -v39
	v_mul_f16_sdwa v34, v30, v18 dst_sel:DWORD dst_unused:UNUSED_PAD src0_sel:DWORD src1_sel:WORD_1
	v_fma_f16 v34, v37, v18, v34
	v_mul_f16_sdwa v37, v37, v18 dst_sel:DWORD dst_unused:UNUSED_PAD src0_sel:DWORD src1_sel:WORD_1
	v_fma_f16 v36, v41, v18, v36
	v_fma_f16 v18, v30, v18, -v37
	v_mul_f16_sdwa v30, v32, v19 dst_sel:DWORD dst_unused:UNUSED_PAD src0_sel:DWORD src1_sel:WORD_1
	v_fma_f16 v30, v29, v19, v30
	v_mul_f16_sdwa v29, v29, v19 dst_sel:DWORD dst_unused:UNUSED_PAD src0_sel:DWORD src1_sel:WORD_1
	v_fma_f16 v19, v32, v19, -v29
	s_waitcnt vmcnt(0)
	v_mul_f16_sdwa v29, v31, v9 dst_sel:DWORD dst_unused:UNUSED_PAD src0_sel:DWORD src1_sel:WORD_1
	v_fma_f16 v29, v28, v9, v29
	v_mul_f16_sdwa v28, v28, v9 dst_sel:DWORD dst_unused:UNUSED_PAD src0_sel:DWORD src1_sel:WORD_1
	v_fma_f16 v28, v31, v9, -v28
	v_mul_f16_sdwa v31, v21, v9 dst_sel:DWORD dst_unused:UNUSED_PAD src0_sel:DWORD src1_sel:WORD_1
	v_mul_f16_sdwa v32, v47, v9 dst_sel:DWORD dst_unused:UNUSED_PAD src0_sel:DWORD src1_sel:WORD_1
	v_fma_f16 v31, v47, v9, v31
	v_fma_f16 v9, v21, v9, -v32
	v_add_f16_e32 v21, v23, v38
	v_fma_f16 v21, v21, -0.5, v25
	v_sub_f16_e32 v32, v20, v33
	v_fma_f16 v37, v32, s1, v21
	v_fma_f16 v21, v32, s0, v21
	s_waitcnt lgkmcnt(0)
	v_add_f16_e32 v32, v35, v20
	v_add_f16_e32 v20, v20, v33
	v_fma_f16 v20, v20, -0.5, v35
	v_add_f16_e32 v25, v25, v23
	v_sub_f16_e32 v23, v23, v38
	v_add_f16_e32 v32, v32, v33
	v_fma_f16 v33, v23, s0, v20
	v_fma_f16 v20, v23, s1, v20
	v_add_f16_e32 v23, v36, v29
	v_fma_f16 v23, v23, -0.5, v22
	v_sub_f16_e32 v35, v27, v28
	v_add_f16_e32 v25, v25, v38
	v_fma_f16 v38, v35, s1, v23
	v_fma_f16 v23, v35, s0, v23
	v_add_f16_e32 v35, v11, v27
	v_add_f16_e32 v27, v27, v28
	v_fma_f16 v11, v27, -0.5, v11
	v_sub_f16_e32 v27, v36, v29
	v_add_f16_e32 v35, v35, v28
	v_add_f16_e32 v22, v22, v36
	v_fma_f16 v28, v27, s0, v11
	v_fma_f16 v11, v27, s1, v11
	v_add_f16_e32 v22, v22, v29
	v_mul_f16_e32 v29, 0xbaee, v11
	v_mul_f16_e32 v11, -0.5, v11
	v_mul_f16_e32 v27, 0xbaee, v28
	v_mul_f16_e32 v28, 0.5, v28
	v_fma_f16 v11, v23, s0, v11
	v_fma_f16 v27, v38, 0.5, v27
	v_fma_f16 v28, v38, s0, v28
	v_add_f16_e32 v38, v20, v11
	v_sub_f16_e32 v11, v20, v11
	v_add_f16_e32 v20, v26, v30
	v_fma_f16 v29, v23, -0.5, v29
	v_add_f16_e32 v23, v25, v22
	v_sub_f16_e32 v22, v25, v22
	v_add_f16_e32 v25, v37, v27
	v_sub_f16_e32 v27, v37, v27
	;; [unrolled: 2-line block ×4, first 2 shown]
	v_fma_f16 v20, v20, -0.5, v24
	v_sub_f16_e32 v28, v17, v19
	v_add_f16_e32 v36, v21, v29
	v_sub_f16_e32 v21, v21, v29
	v_fma_f16 v29, v28, s1, v20
	v_fma_f16 v20, v28, s0, v20
	v_add_f16_e32 v28, v5, v17
	v_add_f16_e32 v17, v17, v19
	;; [unrolled: 1-line block ×3, first 2 shown]
	v_fma_f16 v5, v17, -0.5, v5
	v_sub_f16_e32 v19, v26, v30
	v_add_f16_e32 v17, v24, v26
	v_fma_f16 v24, v19, s0, v5
	v_fma_f16 v5, v19, s1, v5
	v_add_f16_e32 v19, v34, v31
	v_fma_f16 v19, v19, -0.5, v40
	v_sub_f16_e32 v26, v18, v9
	v_add_f16_e32 v17, v17, v30
	v_fma_f16 v30, v26, s1, v19
	v_fma_f16 v19, v26, s0, v19
	v_add_f16_e32 v26, v16, v18
	v_add_f16_e32 v26, v26, v9
	;; [unrolled: 1-line block ×3, first 2 shown]
	v_fma_f16 v9, v9, -0.5, v16
	v_add_f16_e32 v16, v40, v34
	v_sub_f16_e32 v18, v34, v31
	v_add_f16_e32 v16, v16, v31
	v_fma_f16 v31, v18, s0, v9
	v_fma_f16 v9, v18, s1, v9
	v_mul_f16_e32 v18, 0xbaee, v31
	v_mul_f16_e32 v31, 0.5, v31
	v_fma_f16 v18, v30, 0.5, v18
	v_fma_f16 v30, v30, s0, v31
	v_mul_f16_e32 v31, 0xbaee, v9
	v_fma_f16 v31, v19, -0.5, v31
	v_mul_f16_e32 v9, -0.5, v9
	v_fma_f16 v9, v19, s0, v9
	v_add_f16_e32 v19, v17, v16
	v_sub_f16_e32 v16, v17, v16
	v_add_f16_e32 v17, v29, v18
	v_sub_f16_e32 v18, v29, v18
	;; [unrolled: 2-line block ×5, first 2 shown]
	s_barrier
	ds_write_b16 v13, v23
	ds_write_b16 v13, v25 offset:432
	ds_write_b16 v13, v36 offset:864
	;; [unrolled: 1-line block ×11, first 2 shown]
	s_waitcnt lgkmcnt(0)
	s_barrier
	v_lshl_add_u32 v27, v10, 1, 0
	v_lshl_add_u32 v28, v8, 1, 0
	ds_read_u16 v18, v1
	ds_read_u16 v25, v28
	;; [unrolled: 1-line block ×5, first 2 shown]
	ds_read_u16 v17, v13 offset:2592
	ds_read_u16 v19, v13 offset:3024
	;; [unrolled: 1-line block ×5, first 2 shown]
	ds_read_u16 v21, v14
	ds_read_u16 v29, v13 offset:4752
	v_add_f16_e32 v40, v5, v9
	v_sub_f16_e32 v5, v5, v9
	s_waitcnt lgkmcnt(0)
	s_barrier
	ds_write_b16 v13, v37
	ds_write_b16 v13, v35 offset:432
	ds_write_b16 v13, v38 offset:864
	;; [unrolled: 1-line block ×11, first 2 shown]
	s_waitcnt lgkmcnt(0)
	s_barrier
	s_and_saveexec_b64 s[0:1], vcc
	s_cbranch_execz .LBB0_15
; %bb.14:
	v_mov_b32_e32 v9, 0
	v_lshlrev_b64 v[30:31], 2, v[8:9]
	v_mov_b32_e32 v32, s9
	v_add_co_u32_e32 v1, vcc, s8, v30
	v_addc_co_u32_e32 v5, vcc, v32, v31, vcc
	v_mov_b32_e32 v8, v9
	v_add_co_u32_e32 v30, vcc, 0x1000, v1
	v_lshlrev_b64 v[7:8], 2, v[7:8]
	v_addc_co_u32_e32 v31, vcc, 0, v5, vcc
	v_add_co_u32_e32 v1, vcc, s8, v7
	s_movk_i32 s0, 0x1000
	v_addc_co_u32_e32 v5, vcc, v32, v8, vcc
	v_add_co_u32_e32 v7, vcc, s0, v1
	v_addc_co_u32_e32 v8, vcc, 0, v5, vcc
	v_mov_b32_e32 v11, v9
	global_load_dword v30, v[30:31], off offset:1064
	s_mov_b32 s5, 0xca4587e7
	global_load_dword v31, v[7:8], off offset:1064
	v_lshlrev_b64 v[7:8], 2, v[10:11]
	s_movk_i32 s4, 0x510
	v_add_co_u32_e32 v1, vcc, s8, v7
	v_addc_co_u32_e32 v5, vcc, v32, v8, vcc
	v_add_co_u32_e32 v7, vcc, s0, v1
	v_addc_co_u32_e32 v8, vcc, 0, v5, vcc
	v_mov_b32_e32 v5, v9
	v_lshlrev_b64 v[4:5], 2, v[4:5]
	global_load_dword v8, v[7:8], off offset:1064
	v_add_co_u32_e32 v1, vcc, s8, v4
	v_addc_co_u32_e32 v5, vcc, v32, v5, vcc
	v_add_co_u32_e32 v4, vcc, s0, v1
	v_addc_co_u32_e32 v5, vcc, 0, v5, vcc
	global_load_dword v10, v[4:5], off offset:1064
	v_mov_b32_e32 v7, v9
	v_lshlrev_b64 v[4:5], 2, v[6:7]
	v_add_co_u32_e32 v1, vcc, s8, v4
	v_addc_co_u32_e32 v5, vcc, v32, v5, vcc
	v_add_co_u32_e32 v4, vcc, s0, v1
	v_addc_co_u32_e32 v5, vcc, 0, v5, vcc
	v_mov_b32_e32 v1, v9
	global_load_dword v7, v[4:5], off offset:1064
	v_lshlrev_b64 v[4:5], 2, v[0:1]
	v_add_co_u32_e32 v1, vcc, s8, v4
	v_addc_co_u32_e32 v5, vcc, v32, v5, vcc
	v_add_co_u32_e32 v4, vcc, s0, v1
	v_addc_co_u32_e32 v5, vcc, 0, v5, vcc
	global_load_dword v9, v[4:5], off offset:1064
	v_mul_i32_i24_e32 v1, -10, v6
	ds_read_u16 v4, v15
	ds_read_u16 v5, v28
	;; [unrolled: 1-line block ×4, first 2 shown]
	ds_read_u16 v15, v13 offset:4752
	ds_read_u16 v32, v13 offset:4320
	v_add_u32_e32 v1, v12, v1
	ds_read_u16 v1, v1
	s_waitcnt vmcnt(5)
	v_lshrrev_b32_e32 v14, 16, v30
	v_mul_f16_e32 v27, v29, v30
	s_waitcnt lgkmcnt(2)
	v_fma_f16 v27, v15, v14, v27
	v_mul_f16_e32 v14, v29, v14
	v_fma_f16 v14, v15, v30, -v14
	s_waitcnt vmcnt(4)
	v_lshrrev_b32_e32 v28, 16, v31
	ds_read_u16 v29, v13 offset:3888
	v_sub_f16_e32 v14, v5, v14
	v_fma_f16 v30, v5, 2.0, -v14
	v_mul_f16_e32 v5, v26, v28
	s_waitcnt lgkmcnt(2)
	v_fma_f16 v5, v32, v31, -v5
	v_mul_f16_e32 v33, v26, v31
	ds_read_u16 v31, v13 offset:3456
	v_sub_f16_e32 v26, v4, v5
	v_fma_f16 v33, v32, v28, v33
	v_fma_f16 v28, v4, 2.0, -v26
	s_waitcnt vmcnt(3)
	v_lshrrev_b32_e32 v4, 16, v8
	v_mul_f16_e32 v5, v23, v8
	s_waitcnt lgkmcnt(1)
	v_fma_f16 v5, v29, v4, v5
	v_mul_f16_e32 v4, v23, v4
	v_fma_f16 v4, v29, v8, -v4
	v_sub_f16_e32 v8, v6, v4
	v_fma_f16 v23, v6, 2.0, -v8
	ds_read_u16 v6, v13 offset:3024
	v_sub_f16_e32 v32, v22, v5
	s_waitcnt vmcnt(2)
	v_lshrrev_b32_e32 v4, 16, v10
	v_mul_f16_e32 v5, v20, v10
	s_waitcnt lgkmcnt(1)
	v_fma_f16 v5, v31, v4, v5
	v_mul_f16_e32 v4, v20, v4
	ds_read_u16 v20, v13 offset:2592
	v_fma_f16 v4, v31, v10, -v4
	v_sub_f16_e32 v29, v21, v5
	v_sub_f16_e32 v10, v11, v4
	ds_read_u16 v13, v13
	v_fma_f16 v21, v21, 2.0, -v29
	v_fma_f16 v11, v11, 2.0, -v10
	;; [unrolled: 1-line block ×3, first 2 shown]
	s_waitcnt vmcnt(1)
	v_lshrrev_b32_e32 v4, 16, v7
	v_mul_f16_e32 v5, v19, v7
	s_waitcnt lgkmcnt(2)
	v_fma_f16 v5, v6, v4, v5
	v_mul_f16_e32 v4, v19, v4
	v_fma_f16 v4, v6, v7, -v4
	v_sub_f16_e32 v7, v1, v4
	v_fma_f16 v19, v1, 2.0, -v7
	v_sub_f16_e32 v12, v18, v5
	v_fma_f16 v18, v18, 2.0, -v12
	;; [unrolled: 2-line block ×3, first 2 shown]
	s_waitcnt vmcnt(0)
	v_lshrrev_b32_e32 v1, 16, v9
	v_mul_f16_e32 v4, v17, v9
	s_waitcnt lgkmcnt(1)
	v_fma_f16 v6, v20, v1, v4
	v_mad_u64_u32 v[4:5], s[0:1], s2, v0, 0
	v_mul_f16_e32 v17, v17, v1
	v_sub_f16_e32 v31, v16, v6
	v_mov_b32_e32 v1, v5
	v_mad_u64_u32 v[5:6], s[0:1], s3, v0, v[1:2]
	v_fma_f16 v1, v20, v9, -v17
	s_waitcnt lgkmcnt(0)
	v_sub_f16_e32 v9, v13, v1
	v_fma_f16 v6, v13, 2.0, -v9
	v_mov_b32_e32 v1, s13
	v_add_co_u32_e32 v13, vcc, s12, v2
	v_addc_co_u32_e32 v17, vcc, v1, v3, vcc
	v_lshlrev_b64 v[1:2], 2, v[4:5]
	v_add_u32_e32 v5, 0x510, v0
	v_mad_u64_u32 v[3:4], s[0:1], s2, v5, 0
	v_fma_f16 v16, v16, 2.0, -v31
	v_add_co_u32_e32 v1, vcc, v13, v1
	v_addc_co_u32_e32 v2, vcc, v17, v2, vcc
	v_pack_b32_f16 v6, v16, v6
	global_store_dword v[1:2], v6, off
	v_mov_b32_e32 v1, v4
	v_mad_u64_u32 v[1:2], s[0:1], s3, v5, v[1:2]
	v_add_u32_e32 v16, 0xd8, v0
	v_mad_u64_u32 v[5:6], s[0:1], s2, v16, 0
	v_mov_b32_e32 v4, v1
	v_lshlrev_b64 v[1:2], 2, v[3:4]
	v_mov_b32_e32 v3, v6
	v_mad_u64_u32 v[3:4], s[0:1], s3, v16, v[3:4]
	v_add_co_u32_e32 v1, vcc, v13, v1
	v_addc_co_u32_e32 v2, vcc, v17, v2, vcc
	v_pack_b32_f16 v4, v31, v9
	v_mov_b32_e32 v6, v3
	global_store_dword v[1:2], v4, off
	v_lshlrev_b64 v[1:2], 2, v[5:6]
	v_add_u32_e32 v5, 0x5e8, v0
	v_mad_u64_u32 v[3:4], s[0:1], s2, v5, 0
	v_add_u32_e32 v16, 0x1b0, v0
	v_add_co_u32_e32 v1, vcc, v13, v1
	v_mad_u64_u32 v[4:5], s[0:1], s3, v5, v[4:5]
	v_mad_u64_u32 v[5:6], s[0:1], s2, v16, 0
	v_addc_co_u32_e32 v2, vcc, v17, v2, vcc
	v_pack_b32_f16 v9, v18, v19
	global_store_dword v[1:2], v9, off
	v_lshlrev_b64 v[1:2], 2, v[3:4]
	v_mov_b32_e32 v3, v6
	v_mad_u64_u32 v[3:4], s[0:1], s3, v16, v[3:4]
	v_add_co_u32_e32 v1, vcc, v13, v1
	v_addc_co_u32_e32 v2, vcc, v17, v2, vcc
	v_pack_b32_f16 v4, v12, v7
	v_mov_b32_e32 v6, v3
	global_store_dword v[1:2], v4, off
	v_lshlrev_b64 v[1:2], 2, v[5:6]
	v_add_u32_e32 v5, 0x6c0, v0
	v_mad_u64_u32 v[3:4], s[0:1], s2, v5, 0
	v_add_u32_e32 v9, 0x288, v0
	v_add_co_u32_e32 v1, vcc, v13, v1
	v_mad_u64_u32 v[4:5], s[0:1], s3, v5, v[4:5]
	v_mad_u64_u32 v[5:6], s[0:1], s2, v9, 0
	v_addc_co_u32_e32 v2, vcc, v17, v2, vcc
	v_pack_b32_f16 v7, v21, v11
	global_store_dword v[1:2], v7, off
	v_lshlrev_b64 v[1:2], 2, v[3:4]
	v_mov_b32_e32 v3, v6
	v_mad_u64_u32 v[3:4], s[0:1], s3, v9, v[3:4]
	v_add_co_u32_e32 v1, vcc, v13, v1
	v_addc_co_u32_e32 v2, vcc, v17, v2, vcc
	v_pack_b32_f16 v4, v29, v10
	v_mov_b32_e32 v6, v3
	global_store_dword v[1:2], v4, off
	v_lshlrev_b64 v[1:2], 2, v[5:6]
	v_add_u32_e32 v5, 0x798, v0
	v_mad_u64_u32 v[3:4], s[0:1], s2, v5, 0
	v_add_u32_e32 v6, 0x360, v0
	v_mul_hi_u32 v9, v6, s5
	v_mad_u64_u32 v[4:5], s[0:1], s3, v5, v[4:5]
	v_add_co_u32_e32 v1, vcc, v13, v1
	v_lshrrev_b32_e32 v5, 10, v9
	v_mad_u32_u24 v9, v5, s4, v6
	v_mad_u64_u32 v[5:6], s[0:1], s2, v9, 0
	v_addc_co_u32_e32 v2, vcc, v17, v2, vcc
	v_pack_b32_f16 v7, v22, v23
	global_store_dword v[1:2], v7, off
	v_lshlrev_b64 v[1:2], 2, v[3:4]
	v_mov_b32_e32 v3, v6
	v_mad_u64_u32 v[3:4], s[0:1], s3, v9, v[3:4]
	v_add_co_u32_e32 v1, vcc, v13, v1
	v_addc_co_u32_e32 v2, vcc, v17, v2, vcc
	v_pack_b32_f16 v4, v32, v8
	v_mov_b32_e32 v6, v3
	global_store_dword v[1:2], v4, off
	v_lshlrev_b64 v[1:2], 2, v[5:6]
	v_add_u32_e32 v5, 0x510, v9
	v_mad_u64_u32 v[3:4], s[0:1], s2, v5, 0
	v_add_co_u32_e32 v1, vcc, v13, v1
	v_mad_u64_u32 v[4:5], s[0:1], s3, v5, v[4:5]
	v_add_u32_e32 v5, 0x438, v0
	v_mul_hi_u32 v7, v5, s5
	v_addc_co_u32_e32 v2, vcc, v17, v2, vcc
	v_pack_b32_f16 v6, v24, v28
	global_store_dword v[1:2], v6, off
	v_lshrrev_b32_e32 v2, 10, v7
	v_mad_u32_u24 v5, v2, s4, v5
	v_lshlrev_b64 v[0:1], 2, v[3:4]
	v_mad_u64_u32 v[2:3], s[0:1], s2, v5, 0
	v_add_u32_e32 v7, 0x510, v5
	v_add_co_u32_e32 v0, vcc, v13, v0
	v_mad_u64_u32 v[3:4], s[0:1], s3, v5, v[3:4]
	v_mad_u64_u32 v[4:5], s[0:1], s2, v7, 0
	v_addc_co_u32_e32 v1, vcc, v17, v1, vcc
	v_pack_b32_f16 v6, v15, v26
	global_store_dword v[0:1], v6, off
	v_lshlrev_b64 v[0:1], 2, v[2:3]
	v_mov_b32_e32 v2, v5
	v_mad_u64_u32 v[2:3], s[0:1], s3, v7, v[2:3]
	v_sub_f16_e32 v27, v25, v27
	v_fma_f16 v25, v25, 2.0, -v27
	v_add_co_u32_e32 v0, vcc, v13, v0
	v_addc_co_u32_e32 v1, vcc, v17, v1, vcc
	v_pack_b32_f16 v3, v25, v30
	v_mov_b32_e32 v5, v2
	global_store_dword v[0:1], v3, off
	v_lshlrev_b64 v[0:1], 2, v[4:5]
	v_pack_b32_f16 v2, v27, v14
	v_add_co_u32_e32 v0, vcc, v13, v0
	v_addc_co_u32_e32 v1, vcc, v17, v1, vcc
	global_store_dword v[0:1], v2, off
.LBB0_15:
	s_endpgm
	.section	.rodata,"a",@progbits
	.p2align	6, 0x0
	.amdhsa_kernel fft_rtc_back_len2592_factors_6_6_6_6_2_wgs_216_tpt_216_halfLds_half_ip_CI_sbrr_dirReg
		.amdhsa_group_segment_fixed_size 0
		.amdhsa_private_segment_fixed_size 0
		.amdhsa_kernarg_size 88
		.amdhsa_user_sgpr_count 6
		.amdhsa_user_sgpr_private_segment_buffer 1
		.amdhsa_user_sgpr_dispatch_ptr 0
		.amdhsa_user_sgpr_queue_ptr 0
		.amdhsa_user_sgpr_kernarg_segment_ptr 1
		.amdhsa_user_sgpr_dispatch_id 0
		.amdhsa_user_sgpr_flat_scratch_init 0
		.amdhsa_user_sgpr_private_segment_size 0
		.amdhsa_uses_dynamic_stack 0
		.amdhsa_system_sgpr_private_segment_wavefront_offset 0
		.amdhsa_system_sgpr_workgroup_id_x 1
		.amdhsa_system_sgpr_workgroup_id_y 0
		.amdhsa_system_sgpr_workgroup_id_z 0
		.amdhsa_system_sgpr_workgroup_info 0
		.amdhsa_system_vgpr_workitem_id 0
		.amdhsa_next_free_vgpr 50
		.amdhsa_next_free_sgpr 24
		.amdhsa_reserve_vcc 1
		.amdhsa_reserve_flat_scratch 0
		.amdhsa_float_round_mode_32 0
		.amdhsa_float_round_mode_16_64 0
		.amdhsa_float_denorm_mode_32 3
		.amdhsa_float_denorm_mode_16_64 3
		.amdhsa_dx10_clamp 1
		.amdhsa_ieee_mode 1
		.amdhsa_fp16_overflow 0
		.amdhsa_exception_fp_ieee_invalid_op 0
		.amdhsa_exception_fp_denorm_src 0
		.amdhsa_exception_fp_ieee_div_zero 0
		.amdhsa_exception_fp_ieee_overflow 0
		.amdhsa_exception_fp_ieee_underflow 0
		.amdhsa_exception_fp_ieee_inexact 0
		.amdhsa_exception_int_div_zero 0
	.end_amdhsa_kernel
	.text
.Lfunc_end0:
	.size	fft_rtc_back_len2592_factors_6_6_6_6_2_wgs_216_tpt_216_halfLds_half_ip_CI_sbrr_dirReg, .Lfunc_end0-fft_rtc_back_len2592_factors_6_6_6_6_2_wgs_216_tpt_216_halfLds_half_ip_CI_sbrr_dirReg
                                        ; -- End function
	.section	.AMDGPU.csdata,"",@progbits
; Kernel info:
; codeLenInByte = 8644
; NumSgprs: 28
; NumVgprs: 50
; ScratchSize: 0
; MemoryBound: 0
; FloatMode: 240
; IeeeMode: 1
; LDSByteSize: 0 bytes/workgroup (compile time only)
; SGPRBlocks: 3
; VGPRBlocks: 12
; NumSGPRsForWavesPerEU: 28
; NumVGPRsForWavesPerEU: 50
; Occupancy: 4
; WaveLimiterHint : 1
; COMPUTE_PGM_RSRC2:SCRATCH_EN: 0
; COMPUTE_PGM_RSRC2:USER_SGPR: 6
; COMPUTE_PGM_RSRC2:TRAP_HANDLER: 0
; COMPUTE_PGM_RSRC2:TGID_X_EN: 1
; COMPUTE_PGM_RSRC2:TGID_Y_EN: 0
; COMPUTE_PGM_RSRC2:TGID_Z_EN: 0
; COMPUTE_PGM_RSRC2:TIDIG_COMP_CNT: 0
	.type	__hip_cuid_b85901dce049ed43,@object ; @__hip_cuid_b85901dce049ed43
	.section	.bss,"aw",@nobits
	.globl	__hip_cuid_b85901dce049ed43
__hip_cuid_b85901dce049ed43:
	.byte	0                               ; 0x0
	.size	__hip_cuid_b85901dce049ed43, 1

	.ident	"AMD clang version 19.0.0git (https://github.com/RadeonOpenCompute/llvm-project roc-6.4.0 25133 c7fe45cf4b819c5991fe208aaa96edf142730f1d)"
	.section	".note.GNU-stack","",@progbits
	.addrsig
	.addrsig_sym __hip_cuid_b85901dce049ed43
	.amdgpu_metadata
---
amdhsa.kernels:
  - .args:
      - .actual_access:  read_only
        .address_space:  global
        .offset:         0
        .size:           8
        .value_kind:     global_buffer
      - .offset:         8
        .size:           8
        .value_kind:     by_value
      - .actual_access:  read_only
        .address_space:  global
        .offset:         16
        .size:           8
        .value_kind:     global_buffer
      - .actual_access:  read_only
        .address_space:  global
        .offset:         24
        .size:           8
        .value_kind:     global_buffer
      - .offset:         32
        .size:           8
        .value_kind:     by_value
      - .actual_access:  read_only
        .address_space:  global
        .offset:         40
        .size:           8
        .value_kind:     global_buffer
      - .actual_access:  read_only
        .address_space:  global
        .offset:         48
        .size:           8
        .value_kind:     global_buffer
      - .offset:         56
        .size:           4
        .value_kind:     by_value
      - .actual_access:  read_only
        .address_space:  global
        .offset:         64
        .size:           8
        .value_kind:     global_buffer
      - .actual_access:  read_only
        .address_space:  global
        .offset:         72
        .size:           8
        .value_kind:     global_buffer
      - .address_space:  global
        .offset:         80
        .size:           8
        .value_kind:     global_buffer
    .group_segment_fixed_size: 0
    .kernarg_segment_align: 8
    .kernarg_segment_size: 88
    .language:       OpenCL C
    .language_version:
      - 2
      - 0
    .max_flat_workgroup_size: 216
    .name:           fft_rtc_back_len2592_factors_6_6_6_6_2_wgs_216_tpt_216_halfLds_half_ip_CI_sbrr_dirReg
    .private_segment_fixed_size: 0
    .sgpr_count:     28
    .sgpr_spill_count: 0
    .symbol:         fft_rtc_back_len2592_factors_6_6_6_6_2_wgs_216_tpt_216_halfLds_half_ip_CI_sbrr_dirReg.kd
    .uniform_work_group_size: 1
    .uses_dynamic_stack: false
    .vgpr_count:     50
    .vgpr_spill_count: 0
    .wavefront_size: 64
amdhsa.target:   amdgcn-amd-amdhsa--gfx906
amdhsa.version:
  - 1
  - 2
...

	.end_amdgpu_metadata
